;; amdgpu-corpus repo=ROCm/rocFFT kind=compiled arch=gfx950 opt=O3
	.text
	.amdgcn_target "amdgcn-amd-amdhsa--gfx950"
	.amdhsa_code_object_version 6
	.protected	fft_rtc_fwd_len91_factors_7_13_wgs_247_tpt_13_half_op_CI_CI_unitstride_sbrr_dirReg ; -- Begin function fft_rtc_fwd_len91_factors_7_13_wgs_247_tpt_13_half_op_CI_CI_unitstride_sbrr_dirReg
	.globl	fft_rtc_fwd_len91_factors_7_13_wgs_247_tpt_13_half_op_CI_CI_unitstride_sbrr_dirReg
	.p2align	8
	.type	fft_rtc_fwd_len91_factors_7_13_wgs_247_tpt_13_half_op_CI_CI_unitstride_sbrr_dirReg,@function
fft_rtc_fwd_len91_factors_7_13_wgs_247_tpt_13_half_op_CI_CI_unitstride_sbrr_dirReg: ; @fft_rtc_fwd_len91_factors_7_13_wgs_247_tpt_13_half_op_CI_CI_unitstride_sbrr_dirReg
; %bb.0:
	s_load_dwordx4 s[4:7], s[0:1], 0x58
	s_load_dwordx4 s[8:11], s[0:1], 0x0
	;; [unrolled: 1-line block ×3, first 2 shown]
	v_mul_u32_u24_e32 v1, 0x13b2, v0
	v_lshrrev_b32_e32 v2, 16, v1
	v_mad_u64_u32 v[8:9], s[2:3], s2, 19, v[2:3]
	v_mov_b32_e32 v4, 0
	v_mov_b32_e32 v9, v4
	s_waitcnt lgkmcnt(0)
	v_cmp_lt_u64_e64 s[2:3], s[10:11], 2
	v_mov_b64_e32 v[10:11], 0
	s_and_b64 vcc, exec, s[2:3]
	v_mov_b64_e32 v[2:3], v[10:11]
	v_mov_b64_e32 v[6:7], v[8:9]
	s_cbranch_vccnz .LBB0_8
; %bb.1:
	s_load_dwordx2 s[2:3], s[0:1], 0x10
	s_add_u32 s16, s14, 8
	s_addc_u32 s17, s15, 0
	s_add_u32 s18, s12, 8
	s_addc_u32 s19, s13, 0
	s_waitcnt lgkmcnt(0)
	s_add_u32 s20, s2, 8
	v_mov_b64_e32 v[10:11], 0
	s_addc_u32 s21, s3, 0
	s_mov_b64 s[22:23], 1
	v_mov_b64_e32 v[2:3], v[10:11]
	v_mov_b64_e32 v[12:13], v[8:9]
.LBB0_2:                                ; =>This Inner Loop Header: Depth=1
	s_load_dwordx2 s[24:25], s[20:21], 0x0
                                        ; implicit-def: $vgpr6_vgpr7
	s_waitcnt lgkmcnt(0)
	v_or_b32_e32 v5, s25, v13
	v_cmp_ne_u64_e32 vcc, 0, v[4:5]
	s_and_saveexec_b64 s[2:3], vcc
	s_xor_b64 s[26:27], exec, s[2:3]
	s_cbranch_execz .LBB0_4
; %bb.3:                                ;   in Loop: Header=BB0_2 Depth=1
	v_cvt_f32_u32_e32 v1, s24
	v_cvt_f32_u32_e32 v5, s25
	s_sub_u32 s2, 0, s24
	s_subb_u32 s3, 0, s25
	v_fmac_f32_e32 v1, 0x4f800000, v5
	v_rcp_f32_e32 v1, v1
	s_nop 0
	v_mul_f32_e32 v1, 0x5f7ffffc, v1
	v_mul_f32_e32 v5, 0x2f800000, v1
	v_trunc_f32_e32 v5, v5
	v_fmac_f32_e32 v1, 0xcf800000, v5
	v_cvt_u32_f32_e32 v5, v5
	v_cvt_u32_f32_e32 v1, v1
	v_mul_lo_u32 v6, s2, v5
	v_mul_hi_u32 v9, s2, v1
	v_mul_lo_u32 v7, s3, v1
	v_add_u32_e32 v9, v9, v6
	v_mul_lo_u32 v16, s2, v1
	v_add_u32_e32 v9, v9, v7
	v_mul_hi_u32 v6, v1, v16
	v_mul_hi_u32 v15, v1, v9
	v_mul_lo_u32 v14, v1, v9
	v_mov_b32_e32 v7, v4
	v_lshl_add_u64 v[6:7], v[6:7], 0, v[14:15]
	v_mul_hi_u32 v15, v5, v16
	v_mul_lo_u32 v16, v5, v16
	v_add_co_u32_e32 v6, vcc, v6, v16
	v_mul_hi_u32 v14, v5, v9
	s_nop 0
	v_addc_co_u32_e32 v6, vcc, v7, v15, vcc
	v_mov_b32_e32 v7, v4
	s_nop 0
	v_addc_co_u32_e32 v15, vcc, 0, v14, vcc
	v_mul_lo_u32 v14, v5, v9
	v_lshl_add_u64 v[6:7], v[6:7], 0, v[14:15]
	v_add_co_u32_e32 v1, vcc, v1, v6
	v_mul_lo_u32 v14, s2, v1
	s_nop 0
	v_addc_co_u32_e32 v5, vcc, v5, v7, vcc
	v_mul_lo_u32 v6, s2, v5
	v_mul_hi_u32 v7, s2, v1
	v_add_u32_e32 v6, v7, v6
	v_mul_lo_u32 v7, s3, v1
	v_add_u32_e32 v9, v6, v7
	v_mul_hi_u32 v17, v5, v14
	v_mul_lo_u32 v18, v5, v14
	v_mul_hi_u32 v7, v1, v9
	v_mul_lo_u32 v6, v1, v9
	v_mul_hi_u32 v14, v1, v14
	v_mov_b32_e32 v15, v4
	v_lshl_add_u64 v[6:7], v[14:15], 0, v[6:7]
	v_add_co_u32_e32 v6, vcc, v6, v18
	v_mul_hi_u32 v16, v5, v9
	s_nop 0
	v_addc_co_u32_e32 v6, vcc, v7, v17, vcc
	v_mul_lo_u32 v14, v5, v9
	s_nop 0
	v_addc_co_u32_e32 v15, vcc, 0, v16, vcc
	v_mov_b32_e32 v7, v4
	v_lshl_add_u64 v[6:7], v[6:7], 0, v[14:15]
	v_add_co_u32_e32 v1, vcc, v1, v6
	v_mul_hi_u32 v14, v12, v1
	s_nop 0
	v_addc_co_u32_e32 v5, vcc, v5, v7, vcc
	v_mad_u64_u32 v[6:7], s[2:3], v12, v5, 0
	v_mov_b32_e32 v15, v4
	v_lshl_add_u64 v[6:7], v[14:15], 0, v[6:7]
	v_mad_u64_u32 v[16:17], s[2:3], v13, v1, 0
	v_add_co_u32_e32 v1, vcc, v6, v16
	v_mad_u64_u32 v[14:15], s[2:3], v13, v5, 0
	s_nop 0
	v_addc_co_u32_e32 v6, vcc, v7, v17, vcc
	v_mov_b32_e32 v7, v4
	s_nop 0
	v_addc_co_u32_e32 v15, vcc, 0, v15, vcc
	v_lshl_add_u64 v[6:7], v[6:7], 0, v[14:15]
	v_mul_lo_u32 v1, s25, v6
	v_mul_lo_u32 v5, s24, v7
	v_mad_u64_u32 v[14:15], s[2:3], s24, v6, 0
	v_add3_u32 v1, v15, v5, v1
	v_sub_u32_e32 v5, v13, v1
	v_mov_b32_e32 v9, s25
	v_sub_co_u32_e32 v18, vcc, v12, v14
	v_lshl_add_u64 v[16:17], v[6:7], 0, 1
	s_nop 0
	v_subb_co_u32_e64 v5, s[2:3], v5, v9, vcc
	v_subrev_co_u32_e64 v9, s[2:3], s24, v18
	v_subb_co_u32_e32 v1, vcc, v13, v1, vcc
	s_nop 0
	v_subbrev_co_u32_e64 v5, s[2:3], 0, v5, s[2:3]
	v_cmp_le_u32_e64 s[2:3], s25, v5
	v_cmp_le_u32_e32 vcc, s25, v1
	s_nop 0
	v_cndmask_b32_e64 v14, 0, -1, s[2:3]
	v_cmp_le_u32_e64 s[2:3], s24, v9
	s_nop 1
	v_cndmask_b32_e64 v9, 0, -1, s[2:3]
	v_cmp_eq_u32_e64 s[2:3], s25, v5
	s_nop 1
	v_cndmask_b32_e64 v5, v14, v9, s[2:3]
	v_lshl_add_u64 v[14:15], v[6:7], 0, 2
	v_cmp_ne_u32_e64 s[2:3], 0, v5
	v_cndmask_b32_e64 v9, 0, -1, vcc
	v_cmp_le_u32_e32 vcc, s24, v18
	v_cndmask_b32_e64 v5, v17, v15, s[2:3]
	s_nop 0
	v_cndmask_b32_e64 v15, 0, -1, vcc
	v_cmp_eq_u32_e32 vcc, s25, v1
	s_nop 1
	v_cndmask_b32_e32 v1, v9, v15, vcc
	v_cmp_ne_u32_e32 vcc, 0, v1
	v_cndmask_b32_e64 v1, v16, v14, s[2:3]
	s_nop 0
	v_cndmask_b32_e32 v7, v7, v5, vcc
	v_cndmask_b32_e32 v6, v6, v1, vcc
.LBB0_4:                                ;   in Loop: Header=BB0_2 Depth=1
	s_andn2_saveexec_b64 s[2:3], s[26:27]
	s_cbranch_execz .LBB0_6
; %bb.5:                                ;   in Loop: Header=BB0_2 Depth=1
	v_cvt_f32_u32_e32 v1, s24
	s_sub_i32 s26, 0, s24
	v_rcp_iflag_f32_e32 v1, v1
	s_nop 0
	v_mul_f32_e32 v1, 0x4f7ffffe, v1
	v_cvt_u32_f32_e32 v1, v1
	v_mul_lo_u32 v5, s26, v1
	v_mul_hi_u32 v5, v1, v5
	v_add_u32_e32 v1, v1, v5
	v_mul_hi_u32 v1, v12, v1
	v_mul_lo_u32 v5, v1, s24
	v_sub_u32_e32 v5, v12, v5
	v_add_u32_e32 v6, 1, v1
	v_subrev_u32_e32 v7, s24, v5
	v_cmp_le_u32_e32 vcc, s24, v5
	s_nop 1
	v_cndmask_b32_e32 v5, v5, v7, vcc
	v_cndmask_b32_e32 v1, v1, v6, vcc
	v_add_u32_e32 v6, 1, v1
	v_cmp_le_u32_e32 vcc, s24, v5
	v_mov_b32_e32 v7, v4
	s_nop 0
	v_cndmask_b32_e32 v6, v1, v6, vcc
.LBB0_6:                                ;   in Loop: Header=BB0_2 Depth=1
	s_or_b64 exec, exec, s[2:3]
	v_mad_u64_u32 v[14:15], s[2:3], v6, s24, 0
	s_load_dwordx2 s[2:3], s[18:19], 0x0
	s_add_u32 s22, s22, 1
	v_mul_lo_u32 v1, v7, s24
	v_mul_lo_u32 v5, v6, s25
	s_load_dwordx2 s[24:25], s[16:17], 0x0
	s_addc_u32 s23, s23, 0
	v_add3_u32 v1, v15, v5, v1
	v_sub_co_u32_e32 v5, vcc, v12, v14
	s_add_u32 s16, s16, 8
	s_nop 0
	v_subb_co_u32_e32 v1, vcc, v13, v1, vcc
	s_addc_u32 s17, s17, 0
	s_waitcnt lgkmcnt(0)
	v_mul_lo_u32 v9, s2, v1
	v_mul_lo_u32 v12, s3, v5
	v_mad_u64_u32 v[10:11], s[2:3], s2, v5, v[10:11]
	s_add_u32 s18, s18, 8
	v_add3_u32 v11, v12, v11, v9
	s_addc_u32 s19, s19, 0
	v_mov_b64_e32 v[12:13], s[10:11]
	v_mul_lo_u32 v1, s24, v1
	v_mul_lo_u32 v9, s25, v5
	v_mad_u64_u32 v[2:3], s[2:3], s24, v5, v[2:3]
	s_add_u32 s20, s20, 8
	v_cmp_ge_u64_e32 vcc, s[22:23], v[12:13]
	v_add3_u32 v3, v9, v3, v1
	s_addc_u32 s21, s21, 0
	s_cbranch_vccnz .LBB0_8
; %bb.7:                                ;   in Loop: Header=BB0_2 Depth=1
	v_mov_b64_e32 v[12:13], v[6:7]
	s_branch .LBB0_2
.LBB0_8:
	s_load_dwordx2 s[0:1], s[0:1], 0x28
	s_lshl_b64 s[10:11], s[10:11], 3
	s_add_u32 s2, s14, s10
	s_addc_u32 s3, s15, s11
                                        ; implicit-def: $sgpr14
                                        ; implicit-def: $vgpr4
	s_waitcnt lgkmcnt(0)
	v_cmp_gt_u64_e32 vcc, s[0:1], v[6:7]
	v_cmp_le_u64_e64 s[0:1], s[0:1], v[6:7]
	s_and_saveexec_b64 s[16:17], s[0:1]
	s_xor_b64 s[0:1], exec, s[16:17]
; %bb.9:
	s_mov_b32 s14, 0x13b13b14
	v_mul_hi_u32 v1, v0, s14
	v_mul_u32_u24_e32 v1, 13, v1
	v_sub_u32_e32 v4, v0, v1
	s_mov_b32 s14, 0
                                        ; implicit-def: $vgpr0
                                        ; implicit-def: $vgpr10_vgpr11
; %bb.10:
	s_or_saveexec_b64 s[0:1], s[0:1]
	v_mov_b32_e32 v5, s14
	v_mov_b32_e32 v9, s14
	;; [unrolled: 1-line block ×3, first 2 shown]
                                        ; implicit-def: $vgpr1
                                        ; implicit-def: $vgpr13
                                        ; implicit-def: $vgpr15
                                        ; implicit-def: $vgpr14
	s_xor_b64 exec, exec, s[0:1]
	s_cbranch_execz .LBB0_12
; %bb.11:
	s_add_u32 s10, s12, s10
	s_addc_u32 s11, s13, s11
	s_load_dwordx2 s[10:11], s[10:11], 0x0
	s_mov_b32 s12, 0x13b13b14
	s_waitcnt lgkmcnt(0)
	v_mul_lo_u32 v1, s11, v6
	v_mul_lo_u32 v4, s10, v7
	v_mad_u64_u32 v[12:13], s[10:11], s10, v6, 0
	v_add3_u32 v13, v13, v4, v1
	v_mul_hi_u32 v1, v0, s12
	v_mul_u32_u24_e32 v1, 13, v1
	v_sub_u32_e32 v4, v0, v1
	v_lshl_add_u64 v[0:1], v[12:13], 2, s[4:5]
	v_lshl_add_u64 v[0:1], v[10:11], 2, v[0:1]
	v_lshlrev_b32_e32 v10, 2, v4
	v_mov_b32_e32 v11, 0
	v_lshl_add_u64 v[10:11], v[0:1], 0, v[10:11]
	global_load_dword v1, v[10:11], off
	global_load_dword v5, v[10:11], off offset:52
	global_load_dword v9, v[10:11], off offset:104
	;; [unrolled: 1-line block ×6, first 2 shown]
.LBB0_12:
	s_or_b64 exec, exec, s[0:1]
	s_mov_b32 s0, 0xaf286bcb
	v_mul_hi_u32 v0, v8, s0
	v_sub_u32_e32 v10, v8, v0
	v_lshrrev_b32_e32 v10, 1, v10
	v_add_u32_e32 v0, v10, v0
	v_lshrrev_b32_e32 v0, 4, v0
	v_mul_lo_u32 v0, v0, 19
	v_sub_u32_e32 v0, v8, v0
	s_waitcnt vmcnt(2)
	v_pk_add_f16 v8, v15, v5
	v_pk_add_f16 v10, v13, v9
	v_pk_add_f16 v9, v9, v13 neg_lo:[0,1] neg_hi:[0,1]
	s_waitcnt vmcnt(0)
	v_pk_add_f16 v11, v14, v12
	v_pk_add_f16 v13, v8, v10 op_sel:[1,1] op_sel_hi:[0,0]
	v_pk_add_f16 v12, v12, v14 neg_lo:[0,1] neg_hi:[0,1]
	v_pk_add_f16 v14, v10, v8 op_sel:[1,1] op_sel_hi:[0,0] neg_lo:[0,1] neg_hi:[0,1]
	v_pk_add_f16 v8, v8, v11 op_sel:[1,1] op_sel_hi:[0,0] neg_lo:[0,1] neg_hi:[0,1]
	;; [unrolled: 1-line block ×3, first 2 shown]
	v_pk_add_f16 v11, v13, v11 op_sel:[0,1] op_sel_hi:[1,0]
	v_pk_add_f16 v5, v5, v15 neg_lo:[0,1] neg_hi:[0,1]
	v_pk_add_f16 v16, v9, v12
	v_pk_add_f16 v1, v11, v1 op_sel:[0,1] op_sel_hi:[1,0]
	s_mov_b32 s0, 0x5040706
	v_pk_add_f16 v17, v12, v9 neg_lo:[0,1] neg_hi:[0,1]
	v_pk_add_f16 v12, v5, v12 neg_lo:[0,1] neg_hi:[0,1]
	;; [unrolled: 1-line block ×3, first 2 shown]
	v_pk_add_f16 v13, v5, v16
	v_perm_b32 v5, v1, v1, s0
	s_movk_i32 s0, 0x2b26
	s_load_dwordx2 s[4:5], s[2:3], 0x0
	v_pk_mul_f16 v10, v10, s0 op_sel_hi:[1,0]
	s_movk_i32 s0, 0x39e0
	s_mov_b32 s3, 0xbcab
	v_pk_mul_f16 v16, v14, s0 op_sel_hi:[1,0]
	s_mov_b32 s2, 0xb846
	v_pk_fma_f16 v1, v11, s3, v1 op_sel_hi:[1,0,1]
	s_movk_i32 s3, 0x3a52
	v_lshrrev_b32_e32 v15, 16, v8
	v_pk_mul_f16 v17, v17, s2 op_sel_hi:[1,0]
	s_movk_i32 s2, 0x3b00
	v_lshrrev_b32_e32 v11, 16, v10
	v_fma_f16 v21, v8, s3, v10
	v_pk_fma_f16 v10, v14, s0, v10 op_sel_hi:[1,0,1] neg_lo:[0,0,1] neg_hi:[0,0,1]
	v_lshrrev_b32_e32 v14, 16, v16
	s_mov_b32 s0, 0xba52
	v_lshrrev_b32_e32 v18, 16, v12
	v_pk_mul_f16 v20, v9, s2 op_sel_hi:[1,0]
	v_fma_f16 v14, v15, s0, -v14
	v_fma_f16 v8, v8, s0, -v16
	s_movk_i32 s0, 0x3574
	v_lshrrev_b32_e32 v16, 16, v17
	v_fma_f16 v11, v15, s3, v11
	v_fma_f16 v15, v12, s0, v17
	;; [unrolled: 1-line block ×3, first 2 shown]
	v_pk_fma_f16 v9, v9, s2, v17 op_sel_hi:[1,0,1] neg_lo:[0,0,1] neg_hi:[0,0,1]
	v_lshrrev_b32_e32 v17, 16, v20
	s_mov_b32 s0, 0xb574
	s_movk_i32 s1, 0x370e
	v_fma_f16 v12, v12, s0, -v20
	v_fma_f16 v17, v18, s0, -v17
	v_pack_b32_f16 v11, v14, v11
	v_pack_b32_f16 v8, v8, v21
	v_pk_mul_f16 v19, v13, s1 op_sel_hi:[1,0]
	v_pk_add_f16 v10, v10, v1
	v_pk_fma_f16 v9, v13, s1, v9 op_sel_hi:[1,0,1]
	v_pk_add_f16 v11, v11, v1 op_sel:[0,1]
	v_pack_b32_f16 v13, v17, v16
	v_pk_add_f16 v1, v8, v1 op_sel_hi:[1,0]
	v_pack_b32_f16 v8, v12, v15
	v_pk_add_f16 v13, v13, v19 op_sel:[0,1]
	v_pk_add_f16 v8, v8, v19 op_sel_hi:[1,0]
	v_mul_u32_u24_e32 v0, 0x5b, v0
	v_pk_add_f16 v17, v11, v13
	v_pk_add_f16 v20, v1, v8 neg_lo:[0,1] neg_hi:[0,1]
	v_pk_add_f16 v16, v8, v1
	v_mad_u32_u24 v1, v4, 28, 0
	s_mov_b32 s10, 0x7060302
	v_pk_add_f16 v19, v9, v10
	v_pk_add_f16 v18, v10, v9 neg_lo:[0,1] neg_hi:[0,1]
	v_lshl_add_u32 v8, v0, 2, v1
	v_perm_b32 v9, v20, v17, s10
	v_pack_b32_f16 v10, v17, v20
	v_pk_add_f16 v21, v11, v13 neg_lo:[0,1] neg_hi:[0,1]
	ds_write2_b32 v8, v9, v10 offset0:1 offset1:2
	v_alignbit_b32 v9, v18, v19, 16
	v_alignbit_b32 v10, v19, v18, 16
	v_lshrrev_b32_e32 v14, 16, v16
	ds_write2_b32 v8, v10, v9 offset0:3 offset1:4
	v_perm_b32 v9, v16, v21, s10
	v_pack_b32_f16 v10, v21, v16
	v_cmp_gt_u32_e64 s[0:1], 7, v4
	ds_write_b32 v8, v5
	ds_write2_b32 v8, v10, v9 offset0:5 offset1:6
	s_waitcnt lgkmcnt(0)
	s_barrier
	s_waitcnt lgkmcnt(0)
                                        ; implicit-def: $vgpr26
                                        ; implicit-def: $vgpr13
                                        ; implicit-def: $vgpr25
                                        ; implicit-def: $vgpr24
                                        ; implicit-def: $vgpr11
                                        ; implicit-def: $vgpr23
                                        ; implicit-def: $vgpr22
                                        ; implicit-def: $vgpr9
                                        ; implicit-def: $vgpr15
	s_and_saveexec_b64 s[2:3], s[0:1]
	s_cbranch_execz .LBB0_14
; %bb.13:
	v_lshlrev_b32_e32 v0, 2, v0
	v_lshlrev_b32_e32 v5, 2, v4
	v_mul_i32_i24_e32 v8, 0xffffffe8, v4
	v_add3_u32 v5, 0, v0, v5
	v_add3_u32 v14, v1, v8, v0
	ds_read2_b32 v[0:1], v14 offset0:7 offset1:14
	ds_read2_b32 v[28:29], v14 offset0:21 offset1:28
	;; [unrolled: 1-line block ×6, first 2 shown]
	ds_read_b32 v5, v5
	ds_read_u16 v15, v14 offset:198
	s_mov_b32 s11, 0x5040100
	s_waitcnt lgkmcnt(4)
	v_lshrrev_b32_e32 v22, 16, v9
	s_waitcnt lgkmcnt(3)
	v_lshrrev_b32_e32 v23, 16, v10
	v_lshrrev_b32_e32 v24, 16, v11
	s_waitcnt lgkmcnt(2)
	v_lshrrev_b32_e32 v25, 16, v12
	v_lshrrev_b32_e32 v26, 16, v13
	v_perm_b32 v17, v0, v1, s11
	v_perm_b32 v20, v0, v1, s10
	v_alignbit_b32 v19, v29, v28, 16
	v_alignbit_b32 v18, v28, v29, 16
	v_lshrrev_b32_e32 v16, 16, v30
	v_perm_b32 v21, v31, v30, s11
	v_lshrrev_b32_e32 v14, 16, v31
.LBB0_14:
	s_or_b64 exec, exec, s[2:3]
	v_cmp_gt_u32_e64 s[2:3], 7, v4
	s_and_b64 s[2:3], vcc, s[2:3]
	s_and_saveexec_b64 s[10:11], s[2:3]
	s_cbranch_execz .LBB0_16
; %bb.15:
	v_add_u32_e32 v0, -7, v4
	v_cndmask_b32_e64 v0, v0, v4, s[0:1]
	v_mul_i32_i24_e32 v0, 12, v0
	v_mov_b32_e32 v1, 0
	v_lshl_add_u64 v[40:41], v[0:1], 2, s[8:9]
	global_load_dwordx4 v[28:31], v[40:41], off
	global_load_dwordx4 v[32:35], v[40:41], off offset:32
	global_load_dwordx4 v[36:39], v[40:41], off offset:16
	v_mul_lo_u32 v0, s5, v6
	v_mul_lo_u32 v27, s4, v7
	v_mad_u64_u32 v[6:7], s[0:1], s4, v6, 0
	v_lshrrev_b32_e32 v41, 16, v20
	v_lshrrev_b32_e32 v40, 16, v17
	v_add3_u32 v7, v7, v27, v0
	v_lshrrev_b32_e32 v42, 16, v18
	s_mov_b32 s0, 0xbbc4
	v_lshrrev_b32_e32 v43, 16, v19
	s_movk_i32 s2, 0x3b15
	v_lshrrev_b32_e32 v44, 16, v21
	s_mov_b32 s1, 0xb9fd
	s_movk_i32 s3, 0x388b
	s_mov_b32 s4, 0xb5ac
	s_movk_i32 s5, 0x2fb7
	s_waitcnt vmcnt(2)
	v_mul_f16_sdwa v0, v41, v28 dst_sel:DWORD dst_unused:UNUSED_PAD src0_sel:DWORD src1_sel:WORD_1
	s_waitcnt vmcnt(1)
	v_mul_f16_sdwa v27, v26, v35 dst_sel:DWORD dst_unused:UNUSED_PAD src0_sel:DWORD src1_sel:WORD_1
	v_mul_f16_sdwa v45, v13, v35 dst_sel:DWORD dst_unused:UNUSED_PAD src0_sel:DWORD src1_sel:WORD_1
	;; [unrolled: 1-line block ×7, first 2 shown]
	v_fma_f16 v13, v13, v35, -v27
	v_fma_f16 v0, v40, v28, -v0
	v_mul_f16_sdwa v49, v12, v34 dst_sel:DWORD dst_unused:UNUSED_PAD src0_sel:DWORD src1_sel:WORD_1
	v_mul_f16_sdwa v50, v17, v29 dst_sel:DWORD dst_unused:UNUSED_PAD src0_sel:DWORD src1_sel:WORD_1
	;; [unrolled: 1-line block ×5, first 2 shown]
	v_fma_f16 v12, v12, v34, -v48
	v_fma_f16 v26, v26, v35, v45
	v_fma_f16 v27, v41, v28, v46
	v_fma_f16 v17, v17, v29, -v47
	v_fma_f16 v10, v10, v32, -v56
	v_fma_f16 v23, v23, v32, v57
	v_sub_f16_e32 v32, v0, v13
	v_mul_f16_sdwa v54, v42, v30 dst_sel:DWORD dst_unused:UNUSED_PAD src0_sel:DWORD src1_sel:WORD_1
	v_mul_f16_sdwa v55, v18, v31 dst_sel:DWORD dst_unused:UNUSED_PAD src0_sel:DWORD src1_sel:WORD_1
	s_waitcnt vmcnt(0)
	v_mul_f16_sdwa v59, v16, v36 dst_sel:DWORD dst_unused:UNUSED_PAD src0_sel:DWORD src1_sel:WORD_1
	v_mul_f16_sdwa v62, v21, v36 dst_sel:DWORD dst_unused:UNUSED_PAD src0_sel:DWORD src1_sel:WORD_1
	v_fma_f16 v25, v25, v34, v49
	v_fma_f16 v20, v20, v29, v50
	v_fma_f16 v28, v42, v30, -v51
	v_fma_f16 v11, v11, v33, -v52
	v_fma_f16 v24, v24, v33, v53
	v_add_f16_e32 v33, v27, v26
	v_sub_f16_e32 v34, v17, v12
	v_mul_f16_e32 v46, 0xb3a8, v32
	v_mul_f16_sdwa v58, v43, v31 dst_sel:DWORD dst_unused:UNUSED_PAD src0_sel:DWORD src1_sel:WORD_1
	v_mul_f16_sdwa v60, v22, v39 dst_sel:DWORD dst_unused:UNUSED_PAD src0_sel:DWORD src1_sel:WORD_1
	;; [unrolled: 1-line block ×3, first 2 shown]
	s_waitcnt lgkmcnt(0)
	v_mul_f16_sdwa v64, v15, v38 dst_sel:DWORD dst_unused:UNUSED_PAD src0_sel:DWORD src1_sel:WORD_1
	v_fma_f16 v19, v19, v30, v54
	v_fma_f16 v29, v43, v31, -v55
	v_fma_f16 v21, v21, v36, -v59
	v_fma_f16 v16, v16, v36, v62
	v_add_f16_e32 v35, v20, v25
	v_sub_f16_e32 v36, v28, v11
	v_mul_f16_e32 v47, 0x3770, v34
	v_fma_f16 v52, v33, s0, v46
	v_mul_f16_sdwa v63, v14, v37 dst_sel:DWORD dst_unused:UNUSED_PAD src0_sel:DWORD src1_sel:WORD_1
	v_fma_f16 v18, v18, v31, v58
	v_fma_f16 v9, v9, v39, -v60
	v_fma_f16 v22, v22, v39, v61
	v_fma_f16 v31, v8, v38, -v64
	v_add_f16_e32 v39, v19, v24
	v_sub_f16_e32 v40, v29, v10
	v_mul_f16_e32 v48, 0xb94e, v36
	v_fma_f16 v53, v35, s2, v47
	v_add_f16_sdwa v52, v52, v5 dst_sel:DWORD dst_unused:UNUSED_PAD src0_sel:DWORD src1_sel:WORD_1
	v_mul_f16_sdwa v8, v8, v38 dst_sel:DWORD dst_unused:UNUSED_PAD src0_sel:DWORD src1_sel:WORD_1
	v_fma_f16 v30, v44, v37, -v63
	v_add_f16_e32 v41, v18, v23
	v_sub_f16_e32 v42, v21, v9
	v_mul_f16_e32 v49, 0x3a95, v40
	v_fma_f16 v54, v39, s1, v48
	v_add_f16_e32 v52, v52, v53
	v_fma_f16 v8, v15, v38, v8
	v_mul_f16_sdwa v15, v44, v37 dst_sel:DWORD dst_unused:UNUSED_PAD src0_sel:DWORD src1_sel:WORD_1
	v_add_f16_e32 v43, v16, v22
	v_sub_f16_e32 v45, v30, v31
	v_mul_f16_e32 v50, 0xbb7b, v42
	v_fma_f16 v55, v41, s3, v49
	v_add_f16_e32 v52, v52, v54
	v_fma_f16 v14, v14, v37, v15
	v_mul_f16_e32 v51, 0x3bf1, v45
	v_fma_f16 v56, v43, s4, v50
	v_add_f16_e32 v52, v52, v55
	v_add_f16_e32 v15, v14, v8
	;; [unrolled: 1-line block ×3, first 2 shown]
	v_fma_f16 v37, v15, s5, v51
	v_sub_f16_e32 v44, v27, v26
	v_add_f16_e32 v37, v52, v37
	v_add_f16_e32 v38, v0, v13
	v_mul_f16_e32 v52, 0xb3a8, v44
	v_sub_f16_e32 v55, v20, v25
	v_fma_f16 v53, v38, s0, -v52
	v_add_f16_e32 v54, v17, v12
	v_mul_f16_e32 v56, 0x3770, v55
	v_add_f16_e32 v53, v53, v5
	v_fma_f16 v57, v54, s2, -v56
	v_sub_f16_e32 v58, v19, v24
	v_add_f16_e32 v53, v53, v57
	v_add_f16_e32 v57, v28, v11
	v_mul_f16_e32 v59, 0xb94e, v58
	v_fma_f16 v60, v57, s1, -v59
	v_sub_f16_e32 v61, v18, v23
	v_add_f16_e32 v53, v53, v60
	v_add_f16_e32 v60, v29, v10
	v_mul_f16_e32 v62, 0x3a95, v61
	;; [unrolled: 5-line block ×4, first 2 shown]
	v_fma_f16 v69, v66, s5, -v68
	v_add_f16_e32 v53, v53, v69
	v_mul_f16_e32 v69, 0xb94e, v32
	v_fma_f16 v70, v33, s1, v69
	v_mul_f16_e32 v71, 0x3bf1, v34
	v_add_f16_sdwa v70, v70, v5 dst_sel:DWORD dst_unused:UNUSED_PAD src0_sel:DWORD src1_sel:WORD_1
	v_fma_f16 v72, v35, s5, v71
	v_add_f16_e32 v70, v70, v72
	v_mul_f16_e32 v72, 0xba95, v36
	v_fma_f16 v73, v39, s3, v72
	v_add_f16_e32 v70, v70, v73
	v_mul_f16_e32 v73, 0x33a8, v40
	;; [unrolled: 3-line block ×5, first 2 shown]
	v_fma_f16 v77, v38, s1, -v76
	v_mul_f16_e32 v78, 0x3bf1, v55
	v_add_f16_e32 v77, v77, v5
	v_fma_f16 v79, v54, s5, -v78
	v_add_f16_e32 v77, v77, v79
	v_mul_f16_e32 v79, 0xba95, v58
	v_fma_f16 v80, v57, s3, -v79
	v_add_f16_e32 v77, v77, v80
	v_mul_f16_e32 v80, 0x33a8, v61
	v_fma_f16 v81, v60, s0, -v80
	v_add_f16_e32 v77, v77, v81
	v_mul_f16_e32 v81, 0x3770, v64
	v_fma_f16 v82, v63, s2, -v81
	v_add_f16_e32 v77, v77, v82
	v_mul_f16_e32 v82, 0xbb7b, v67
	v_fma_f16 v83, v66, s4, -v82
	v_add_f16_e32 v77, v77, v83
	v_mul_f16_e32 v83, 0xbb7b, v32
	v_fma_f16 v84, v33, s4, v83
	v_mul_f16_e32 v85, 0x394e, v34
	v_add_f16_sdwa v84, v84, v5 dst_sel:DWORD dst_unused:UNUSED_PAD src0_sel:DWORD src1_sel:WORD_1
	v_fma_f16 v86, v35, s1, v85
	v_add_f16_e32 v84, v84, v86
	v_mul_f16_e32 v86, 0x3770, v36
	v_fma_f16 v87, v39, s2, v86
	v_add_f16_e32 v84, v84, v87
	v_mul_f16_e32 v87, 0xbbf1, v40
	;; [unrolled: 3-line block ×5, first 2 shown]
	v_fma_f16 v91, v38, s4, -v90
	v_mul_f16_e32 v92, 0x394e, v55
	v_add_f16_e32 v91, v91, v5
	v_fma_f16 v93, v54, s1, -v92
	v_add_f16_e32 v91, v91, v93
	v_mul_f16_e32 v93, 0x3770, v58
	v_fma_f16 v94, v57, s2, -v93
	v_add_f16_e32 v91, v91, v94
	v_mul_f16_e32 v94, 0xbbf1, v61
	;; [unrolled: 3-line block ×5, first 2 shown]
	v_fma_f16 v46, v33, s0, -v46
	v_fma_f16 v98, v33, s5, v97
	v_mul_f16_e32 v99, 0xb3a8, v34
	v_add_f16_sdwa v46, v46, v5 dst_sel:DWORD dst_unused:UNUSED_PAD src0_sel:DWORD src1_sel:WORD_1
	v_fma_f16 v47, v35, s2, -v47
	v_add_f16_sdwa v98, v98, v5 dst_sel:DWORD dst_unused:UNUSED_PAD src0_sel:DWORD src1_sel:WORD_1
	v_fma_f16 v100, v35, s0, v99
	v_add_f16_e32 v46, v46, v47
	v_fma_f16 v47, v39, s1, -v48
	v_add_f16_e32 v98, v98, v100
	v_mul_f16_e32 v100, 0x3b7b, v36
	v_add_f16_e32 v46, v46, v47
	v_fma_f16 v47, v41, s3, -v49
	v_fma_f16 v101, v39, s4, v100
	v_add_f16_e32 v46, v46, v47
	v_fma_f16 v47, v43, s4, -v50
	v_add_f16_e32 v98, v98, v101
	v_mul_f16_e32 v101, 0x3770, v40
	v_add_f16_e32 v46, v46, v47
	v_fma_f16 v47, v15, s5, -v51
	v_fma_f16 v102, v41, s2, v101
	v_add_f16_e32 v46, v46, v47
	v_fma_f16 v47, v38, s0, v52
	v_add_f16_e32 v98, v98, v102
	v_mul_f16_e32 v102, 0xba95, v42
	v_add_f16_e32 v47, v47, v5
	v_fma_f16 v48, v54, s2, v56
	v_fma_f16 v103, v43, s3, v102
	v_add_f16_e32 v47, v47, v48
	v_fma_f16 v48, v57, s1, v59
	v_add_f16_e32 v98, v98, v103
	v_mul_f16_e32 v103, 0xb94e, v45
	v_add_f16_e32 v47, v47, v48
	v_fma_f16 v48, v60, s3, v62
	;; [unrolled: 7-line block ×3, first 2 shown]
	v_fma_f16 v105, v38, s5, -v104
	v_mul_f16_e32 v106, 0xb3a8, v55
	v_add_f16_e32 v47, v47, v48
	v_fma_f16 v48, v33, s1, -v69
	v_add_f16_e32 v105, v105, v5
	v_fma_f16 v107, v54, s0, -v106
	v_add_f16_sdwa v48, v48, v5 dst_sel:DWORD dst_unused:UNUSED_PAD src0_sel:DWORD src1_sel:WORD_1
	v_fma_f16 v49, v35, s5, -v71
	v_add_f16_e32 v105, v105, v107
	v_mul_f16_e32 v107, 0x3b7b, v58
	v_add_f16_e32 v48, v48, v49
	v_fma_f16 v49, v39, s3, -v72
	v_fma_f16 v108, v57, s4, -v107
	v_add_f16_e32 v48, v48, v49
	v_fma_f16 v49, v41, s0, -v73
	v_add_f16_e32 v105, v105, v108
	v_mul_f16_e32 v108, 0x3770, v61
	v_add_f16_e32 v48, v48, v49
	v_fma_f16 v49, v43, s2, -v74
	v_fma_f16 v109, v60, s2, -v108
	v_add_f16_e32 v48, v48, v49
	v_fma_f16 v49, v15, s4, -v75
	v_add_f16_e32 v105, v105, v109
	v_mul_f16_e32 v109, 0xba95, v64
	v_add_f16_e32 v48, v48, v49
	v_fma_f16 v49, v38, s1, v76
	v_fma_f16 v110, v63, s3, -v109
	v_add_f16_e32 v49, v49, v5
	v_fma_f16 v50, v54, s5, v78
	v_add_f16_e32 v105, v105, v110
	v_mul_f16_e32 v110, 0xb94e, v67
	v_add_f16_e32 v49, v49, v50
	v_fma_f16 v50, v57, s3, v79
	v_fma_f16 v111, v66, s1, -v110
	v_add_f16_e32 v49, v49, v50
	v_fma_f16 v50, v60, s0, v80
	v_add_f16_e32 v105, v105, v111
	v_mul_f16_e32 v111, 0xba95, v32
	v_add_f16_e32 v49, v49, v50
	v_fma_f16 v50, v63, s2, v81
	v_fma_f16 v112, v33, s3, v111
	v_mul_f16_e32 v113, 0xbb7b, v34
	v_add_f16_e32 v49, v49, v50
	v_fma_f16 v50, v66, s4, v82
	v_add_f16_sdwa v112, v112, v5 dst_sel:DWORD dst_unused:UNUSED_PAD src0_sel:DWORD src1_sel:WORD_1
	v_fma_f16 v114, v35, s4, v113
	v_add_f16_e32 v49, v49, v50
	v_fma_f16 v50, v33, s4, -v83
	v_add_f16_e32 v112, v112, v114
	v_mul_f16_e32 v114, 0xb3a8, v36
	v_add_f16_sdwa v50, v50, v5 dst_sel:DWORD dst_unused:UNUSED_PAD src0_sel:DWORD src1_sel:WORD_1
	v_fma_f16 v51, v35, s1, -v85
	v_fma_f16 v115, v39, s0, v114
	v_add_f16_e32 v50, v50, v51
	v_fma_f16 v51, v39, s2, -v86
	v_add_f16_e32 v112, v112, v115
	v_mul_f16_e32 v115, 0x394e, v40
	v_add_f16_e32 v50, v50, v51
	v_fma_f16 v51, v41, s5, -v87
	v_fma_f16 v116, v41, s1, v115
	v_add_f16_e32 v50, v50, v51
	v_fma_f16 v51, v43, s0, -v88
	v_add_f16_e32 v112, v112, v116
	v_mul_f16_e32 v116, 0x3bf1, v42
	v_add_f16_e32 v50, v50, v51
	v_fma_f16 v51, v15, s3, -v89
	v_fma_f16 v117, v43, s5, v116
	v_add_f16_e32 v50, v50, v51
	v_fma_f16 v51, v38, s4, v90
	v_add_f16_e32 v112, v112, v117
	v_mul_f16_e32 v117, 0x3770, v45
	v_add_f16_e32 v51, v51, v5
	v_fma_f16 v52, v54, s1, v92
	v_fma_f16 v118, v15, s2, v117
	v_add_f16_e32 v51, v51, v52
	v_fma_f16 v52, v57, s2, v93
	v_add_f16_e32 v112, v112, v118
	v_mul_f16_e32 v118, 0xba95, v44
	v_add_f16_e32 v51, v51, v52
	v_fma_f16 v52, v60, s5, v94
	v_fma_f16 v119, v38, s3, -v118
	v_mul_f16_e32 v120, 0xbb7b, v55
	v_add_f16_e32 v51, v51, v52
	v_fma_f16 v52, v63, s0, v95
	v_add_f16_e32 v119, v119, v5
	v_fma_f16 v121, v54, s4, -v120
	v_add_f16_e32 v51, v51, v52
	v_fma_f16 v52, v66, s3, v96
	v_add_f16_e32 v119, v119, v121
	v_mul_f16_e32 v121, 0xb3a8, v58
	v_add_f16_e32 v51, v51, v52
	v_fma_f16 v52, v33, s5, -v97
	v_fma_f16 v122, v57, s0, -v121
	v_add_f16_sdwa v52, v52, v5 dst_sel:DWORD dst_unused:UNUSED_PAD src0_sel:DWORD src1_sel:WORD_1
	v_fma_f16 v56, v35, s0, -v99
	v_add_f16_e32 v119, v119, v122
	v_mul_f16_e32 v122, 0x394e, v61
	v_add_f16_e32 v52, v52, v56
	v_fma_f16 v56, v39, s4, -v100
	v_fma_f16 v123, v60, s1, -v122
	v_add_f16_e32 v52, v52, v56
	v_fma_f16 v56, v41, s2, -v101
	v_add_f16_e32 v119, v119, v123
	v_mul_f16_e32 v123, 0x3bf1, v64
	v_add_f16_e32 v52, v52, v56
	v_fma_f16 v56, v43, s3, -v102
	v_fma_f16 v124, v63, s5, -v123
	v_add_f16_e32 v52, v52, v56
	v_fma_f16 v56, v15, s1, -v103
	v_add_f16_e32 v119, v119, v124
	v_mul_f16_e32 v124, 0x3770, v67
	v_add_f16_e32 v52, v52, v56
	v_fma_f16 v56, v38, s5, v104
	v_fma_f16 v125, v66, s2, -v124
	v_mul_f16_e32 v32, 0xb770, v32
	v_add_f16_e32 v56, v56, v5
	v_fma_f16 v59, v54, s0, v106
	v_add_f16_sdwa v27, v27, v5 dst_sel:DWORD dst_unused:UNUSED_PAD src0_sel:DWORD src1_sel:WORD_1
	v_add_f16_e32 v0, v0, v5
	v_add_f16_e32 v119, v119, v125
	v_fma_f16 v125, v33, s2, v32
	v_mul_f16_e32 v34, 0xba95, v34
	v_add_f16_e32 v56, v56, v59
	v_fma_f16 v59, v57, s4, v107
	v_add_f16_e32 v20, v27, v20
	v_add_f16_e32 v0, v0, v17
	v_add_f16_sdwa v125, v125, v5 dst_sel:DWORD dst_unused:UNUSED_PAD src0_sel:DWORD src1_sel:WORD_1
	v_fma_f16 v126, v35, s3, v34
	v_mul_f16_e32 v36, 0xbbf1, v36
	v_add_f16_e32 v56, v56, v59
	v_fma_f16 v59, v60, s2, v108
	v_add_f16_e32 v19, v20, v19
	v_add_f16_e32 v0, v0, v28
	v_add_f16_e32 v125, v125, v126
	v_fma_f16 v126, v39, s5, v36
	v_mul_f16_e32 v40, 0xbb7b, v40
	v_add_f16_e32 v56, v56, v59
	v_fma_f16 v59, v63, s3, v109
	v_add_f16_e32 v18, v19, v18
	v_add_f16_e32 v0, v0, v29
	v_add_f16_e32 v125, v125, v126
	;; [unrolled: 7-line block ×3, first 2 shown]
	v_fma_f16 v126, v43, s1, v42
	v_mul_f16_e32 v45, 0xb3a8, v45
	v_add_f16_e32 v56, v56, v59
	v_fma_f16 v59, v33, s3, -v111
	v_fma_f16 v32, v33, s2, -v32
	v_add_f16_e32 v14, v16, v14
	v_add_f16_e32 v0, v0, v30
	;; [unrolled: 1-line block ×3, first 2 shown]
	v_fma_f16 v126, v15, s0, v45
	v_mul_f16_e32 v44, 0xb770, v44
	v_add_f16_sdwa v59, v59, v5 dst_sel:DWORD dst_unused:UNUSED_PAD src0_sel:DWORD src1_sel:WORD_1
	v_fma_f16 v62, v35, s4, -v113
	v_fma_f16 v33, v35, s3, -v34
	v_add_f16_sdwa v32, v32, v5 dst_sel:DWORD dst_unused:UNUSED_PAD src0_sel:DWORD src1_sel:WORD_1
	v_add_f16_e32 v8, v14, v8
	v_add_f16_e32 v0, v0, v31
	v_add_f16_e32 v125, v125, v126
	v_fma_f16 v126, v38, s2, -v44
	v_mul_f16_e32 v55, 0xba95, v55
	v_add_f16_e32 v59, v59, v62
	v_fma_f16 v62, v39, s0, -v114
	v_add_f16_e32 v32, v32, v33
	v_fma_f16 v33, v39, s5, -v36
	v_add_f16_e32 v8, v22, v8
	v_add_f16_e32 v0, v9, v0
	v_add_f16_e32 v126, v126, v5
	v_fma_f16 v127, v54, s3, -v55
	v_mul_f16_e32 v58, 0xbbf1, v58
	v_add_f16_e32 v59, v59, v62
	v_fma_f16 v62, v41, s1, -v115
	v_add_f16_e32 v32, v32, v33
	v_fma_f16 v33, v41, s4, -v40
	;; [unrolled: 9-line block ×4, first 2 shown]
	v_add_f16_e32 v8, v25, v8
	v_add_f16_e32 v0, v12, v0
	;; [unrolled: 1-line block ×3, first 2 shown]
	v_fma_f16 v127, v63, s1, -v64
	v_mul_f16_e32 v67, 0xb3a8, v67
	v_add_f16_e32 v59, v59, v62
	v_fma_f16 v62, v38, s3, v118
	v_add_f16_e32 v15, v32, v15
	v_fma_f16 v32, v38, s2, v44
	v_add_f16_sdwa v8, v26, v8 dst_sel:WORD_1 dst_unused:UNUSED_PAD src0_sel:DWORD src1_sel:DWORD
	v_add_f16_e32 v0, v13, v0
	v_add_f16_e32 v126, v126, v127
	v_fma_f16 v127, v66, s0, -v67
	v_add_f16_e32 v62, v62, v5
	v_add_f16_e32 v32, v32, v5
	v_or_b32_e32 v8, v8, v0
	v_mov_b32_e32 v5, v1
	v_lshl_add_u64 v[0:1], v[6:7], 2, s[6:7]
	v_add_f16_e32 v126, v126, v127
	v_lshl_add_u64 v[0:1], v[2:3], 2, v[0:1]
	v_lshl_add_u64 v[0:1], v[4:5], 2, v[0:1]
	v_pack_b32_f16 v2, v126, v125
	global_store_dword v[0:1], v2, off offset:28
	v_pack_b32_f16 v2, v119, v112
	global_store_dword v[0:1], v2, off offset:56
	;; [unrolled: 2-line block ×3, first 2 shown]
	v_pack_b32_f16 v2, v91, v84
	v_fma_f16 v65, v54, s4, v120
	global_store_dword v[0:1], v2, off offset:112
	v_pack_b32_f16 v2, v77, v70
	v_add_f16_e32 v62, v62, v65
	v_fma_f16 v65, v57, s0, v121
	v_fma_f16 v33, v54, s3, v55
	global_store_dword v[0:1], v2, off offset:140
	v_pack_b32_f16 v2, v53, v37
	v_add_f16_e32 v62, v62, v65
	v_fma_f16 v65, v60, s1, v122
	v_add_f16_e32 v32, v32, v33
	v_fma_f16 v33, v57, s5, v58
	global_store_dword v[0:1], v2, off offset:168
	v_pack_b32_f16 v2, v47, v46
	v_add_f16_e32 v62, v62, v65
	v_fma_f16 v65, v63, s5, v123
	v_add_f16_e32 v32, v32, v33
	;; [unrolled: 6-line block ×3, first 2 shown]
	v_fma_f16 v33, v63, s1, v64
	global_store_dword v[0:1], v2, off offset:224
	v_pack_b32_f16 v2, v51, v50
	v_add_f16_e32 v62, v62, v65
	v_add_f16_e32 v32, v32, v33
	v_fma_f16 v33, v66, s0, v67
	global_store_dword v[0:1], v2, off offset:252
	v_pack_b32_f16 v2, v56, v52
	v_add_f16_e32 v32, v32, v33
	global_store_dword v[0:1], v2, off offset:280
	v_pack_b32_f16 v2, v62, v59
	global_store_dword v[0:1], v2, off offset:308
	v_pack_b32_f16 v2, v32, v15
	global_store_dword v[0:1], v8, off
	global_store_dword v[0:1], v2, off offset:336
.LBB0_16:
	s_endpgm
	.section	.rodata,"a",@progbits
	.p2align	6, 0x0
	.amdhsa_kernel fft_rtc_fwd_len91_factors_7_13_wgs_247_tpt_13_half_op_CI_CI_unitstride_sbrr_dirReg
		.amdhsa_group_segment_fixed_size 0
		.amdhsa_private_segment_fixed_size 0
		.amdhsa_kernarg_size 104
		.amdhsa_user_sgpr_count 2
		.amdhsa_user_sgpr_dispatch_ptr 0
		.amdhsa_user_sgpr_queue_ptr 0
		.amdhsa_user_sgpr_kernarg_segment_ptr 1
		.amdhsa_user_sgpr_dispatch_id 0
		.amdhsa_user_sgpr_kernarg_preload_length 0
		.amdhsa_user_sgpr_kernarg_preload_offset 0
		.amdhsa_user_sgpr_private_segment_size 0
		.amdhsa_uses_dynamic_stack 0
		.amdhsa_enable_private_segment 0
		.amdhsa_system_sgpr_workgroup_id_x 1
		.amdhsa_system_sgpr_workgroup_id_y 0
		.amdhsa_system_sgpr_workgroup_id_z 0
		.amdhsa_system_sgpr_workgroup_info 0
		.amdhsa_system_vgpr_workitem_id 0
		.amdhsa_next_free_vgpr 128
		.amdhsa_next_free_sgpr 28
		.amdhsa_accum_offset 128
		.amdhsa_reserve_vcc 1
		.amdhsa_float_round_mode_32 0
		.amdhsa_float_round_mode_16_64 0
		.amdhsa_float_denorm_mode_32 3
		.amdhsa_float_denorm_mode_16_64 3
		.amdhsa_dx10_clamp 1
		.amdhsa_ieee_mode 1
		.amdhsa_fp16_overflow 0
		.amdhsa_tg_split 0
		.amdhsa_exception_fp_ieee_invalid_op 0
		.amdhsa_exception_fp_denorm_src 0
		.amdhsa_exception_fp_ieee_div_zero 0
		.amdhsa_exception_fp_ieee_overflow 0
		.amdhsa_exception_fp_ieee_underflow 0
		.amdhsa_exception_fp_ieee_inexact 0
		.amdhsa_exception_int_div_zero 0
	.end_amdhsa_kernel
	.text
.Lfunc_end0:
	.size	fft_rtc_fwd_len91_factors_7_13_wgs_247_tpt_13_half_op_CI_CI_unitstride_sbrr_dirReg, .Lfunc_end0-fft_rtc_fwd_len91_factors_7_13_wgs_247_tpt_13_half_op_CI_CI_unitstride_sbrr_dirReg
                                        ; -- End function
	.section	.AMDGPU.csdata,"",@progbits
; Kernel info:
; codeLenInByte = 5648
; NumSgprs: 34
; NumVgprs: 128
; NumAgprs: 0
; TotalNumVgprs: 128
; ScratchSize: 0
; MemoryBound: 0
; FloatMode: 240
; IeeeMode: 1
; LDSByteSize: 0 bytes/workgroup (compile time only)
; SGPRBlocks: 4
; VGPRBlocks: 15
; NumSGPRsForWavesPerEU: 34
; NumVGPRsForWavesPerEU: 128
; AccumOffset: 128
; Occupancy: 4
; WaveLimiterHint : 1
; COMPUTE_PGM_RSRC2:SCRATCH_EN: 0
; COMPUTE_PGM_RSRC2:USER_SGPR: 2
; COMPUTE_PGM_RSRC2:TRAP_HANDLER: 0
; COMPUTE_PGM_RSRC2:TGID_X_EN: 1
; COMPUTE_PGM_RSRC2:TGID_Y_EN: 0
; COMPUTE_PGM_RSRC2:TGID_Z_EN: 0
; COMPUTE_PGM_RSRC2:TIDIG_COMP_CNT: 0
; COMPUTE_PGM_RSRC3_GFX90A:ACCUM_OFFSET: 31
; COMPUTE_PGM_RSRC3_GFX90A:TG_SPLIT: 0
	.text
	.p2alignl 6, 3212836864
	.fill 256, 4, 3212836864
	.type	__hip_cuid_4981f9a8fbf6e143,@object ; @__hip_cuid_4981f9a8fbf6e143
	.section	.bss,"aw",@nobits
	.globl	__hip_cuid_4981f9a8fbf6e143
__hip_cuid_4981f9a8fbf6e143:
	.byte	0                               ; 0x0
	.size	__hip_cuid_4981f9a8fbf6e143, 1

	.ident	"AMD clang version 19.0.0git (https://github.com/RadeonOpenCompute/llvm-project roc-6.4.0 25133 c7fe45cf4b819c5991fe208aaa96edf142730f1d)"
	.section	".note.GNU-stack","",@progbits
	.addrsig
	.addrsig_sym __hip_cuid_4981f9a8fbf6e143
	.amdgpu_metadata
---
amdhsa.kernels:
  - .agpr_count:     0
    .args:
      - .actual_access:  read_only
        .address_space:  global
        .offset:         0
        .size:           8
        .value_kind:     global_buffer
      - .offset:         8
        .size:           8
        .value_kind:     by_value
      - .actual_access:  read_only
        .address_space:  global
        .offset:         16
        .size:           8
        .value_kind:     global_buffer
      - .actual_access:  read_only
        .address_space:  global
        .offset:         24
        .size:           8
        .value_kind:     global_buffer
      - .actual_access:  read_only
        .address_space:  global
        .offset:         32
        .size:           8
        .value_kind:     global_buffer
      - .offset:         40
        .size:           8
        .value_kind:     by_value
      - .actual_access:  read_only
        .address_space:  global
        .offset:         48
        .size:           8
        .value_kind:     global_buffer
      - .actual_access:  read_only
        .address_space:  global
        .offset:         56
        .size:           8
        .value_kind:     global_buffer
      - .offset:         64
        .size:           4
        .value_kind:     by_value
      - .actual_access:  read_only
        .address_space:  global
        .offset:         72
        .size:           8
        .value_kind:     global_buffer
      - .actual_access:  read_only
        .address_space:  global
        .offset:         80
        .size:           8
        .value_kind:     global_buffer
      - .actual_access:  read_only
        .address_space:  global
        .offset:         88
        .size:           8
        .value_kind:     global_buffer
      - .actual_access:  write_only
        .address_space:  global
        .offset:         96
        .size:           8
        .value_kind:     global_buffer
    .group_segment_fixed_size: 0
    .kernarg_segment_align: 8
    .kernarg_segment_size: 104
    .language:       OpenCL C
    .language_version:
      - 2
      - 0
    .max_flat_workgroup_size: 247
    .name:           fft_rtc_fwd_len91_factors_7_13_wgs_247_tpt_13_half_op_CI_CI_unitstride_sbrr_dirReg
    .private_segment_fixed_size: 0
    .sgpr_count:     34
    .sgpr_spill_count: 0
    .symbol:         fft_rtc_fwd_len91_factors_7_13_wgs_247_tpt_13_half_op_CI_CI_unitstride_sbrr_dirReg.kd
    .uniform_work_group_size: 1
    .uses_dynamic_stack: false
    .vgpr_count:     128
    .vgpr_spill_count: 0
    .wavefront_size: 64
amdhsa.target:   amdgcn-amd-amdhsa--gfx950
amdhsa.version:
  - 1
  - 2
...

	.end_amdgpu_metadata
